;; amdgpu-corpus repo=zjin-lcf/HeCBench kind=compiled arch=gfx906 opt=O3
	.amdgcn_target "amdgcn-amd-amdhsa--gfx906"
	.amdhsa_code_object_version 6
	.text
	.protected	_Z10zero_pointPKfS0_iiibPfPi ; -- Begin function _Z10zero_pointPKfS0_iiibPfPi
	.globl	_Z10zero_pointPKfS0_iiibPfPi
	.p2align	8
	.type	_Z10zero_pointPKfS0_iiibPfPi,@function
_Z10zero_pointPKfS0_iiibPfPi:           ; @_Z10zero_pointPKfS0_iiibPfPi
; %bb.0:
	s_load_dword s0, s[4:5], 0x3c
	s_load_dwordx4 s[8:11], s[4:5], 0x10
	s_waitcnt lgkmcnt(0)
	s_and_b32 s0, s0, 0xffff
	s_mul_i32 s6, s6, s0
	v_add_u32_e32 v0, s6, v0
	v_cmp_gt_i32_e32 vcc, s10, v0
	s_and_saveexec_b64 s[0:1], vcc
	s_cbranch_execz .LBB0_8
; %bb.1:
	s_load_dwordx4 s[0:3], s[4:5], 0x0
	v_ashrrev_i32_e32 v1, 31, v0
	v_lshlrev_b64 v[0:1], 2, v[0:1]
	s_bitcmp1_b32 s11, 0
	s_cselect_b64 s[10:11], -1, 0
	s_waitcnt lgkmcnt(0)
	v_mov_b32_e32 v3, s1
	v_add_co_u32_e32 v2, vcc, s0, v0
	v_addc_co_u32_e32 v3, vcc, v3, v1, vcc
	global_load_dword v2, v[2:3], off
	v_mov_b32_e32 v4, s3
	v_add_co_u32_e32 v3, vcc, s2, v0
	v_addc_co_u32_e32 v4, vcc, v4, v1, vcc
	global_load_dword v3, v[3:4], off
	s_sub_i32 s6, s9, s8
	s_waitcnt vmcnt(1)
	v_cmp_gt_f32_e32 vcc, 0, v2
	s_waitcnt vmcnt(0)
	v_cmp_lt_f32_e64 s[0:1], 0, v3
	s_and_b64 s[0:1], vcc, s[0:1]
	s_and_b64 s[0:1], s[10:11], s[0:1]
	s_and_saveexec_b64 s[2:3], s[0:1]
	s_cbranch_execz .LBB0_3
; %bb.2:
	s_lshr_b32 s0, s6, 31
	s_add_i32 s0, s6, s0
	s_ashr_i32 s7, s0, 1
	s_not_b32 s12, s7
	v_cvt_f32_i32_e32 v7, s12
	v_cvt_f32_i32_e32 v6, s7
	v_div_scale_f32 v5, s[0:1], v7, v7, v2
	v_div_scale_f32 v4, s[0:1], v6, v6, v3
	v_div_scale_f32 v9, vcc, v2, v7, v2
	v_div_scale_f32 v8, s[0:1], v3, v6, v3
	v_rcp_f32_e32 v11, v5
	v_rcp_f32_e32 v10, v4
	v_fma_f32 v13, -v5, v11, 1.0
	v_fmac_f32_e32 v11, v13, v11
	v_fma_f32 v12, -v4, v10, 1.0
	v_fmac_f32_e32 v10, v12, v10
	v_mul_f32_e32 v13, v9, v11
	v_mul_f32_e32 v12, v8, v10
	v_fma_f32 v15, -v5, v13, v9
	v_fma_f32 v14, -v4, v12, v8
	v_fmac_f32_e32 v13, v15, v11
	v_fmac_f32_e32 v12, v14, v10
	v_fma_f32 v5, -v5, v13, v9
	v_fma_f32 v4, -v4, v12, v8
	v_div_fmas_f32 v8, v5, v11, v13
	s_mov_b64 vcc, s[0:1]
	v_div_fmas_f32 v9, v4, v10, v12
	v_cvt_f64_i32_e32 v[4:5], s12
	v_div_fixup_f32 v2, v8, v7, v2
	v_div_fixup_f32 v3, v9, v6, v3
	v_max_f32_e64 v2, |v2|, |v3|
	v_cvt_f64_f32_e32 v[2:3], v2
	v_cvt_f64_i32_e32 v[6:7], s7
	v_mul_f64 v[4:5], v[4:5], v[2:3]
	v_mul_f64 v[6:7], v[6:7], v[2:3]
	v_cvt_f32_f64_e32 v2, v[4:5]
	v_cvt_f32_f64_e32 v3, v[6:7]
.LBB0_3:
	s_or_b64 exec, exec, s[2:3]
	v_max_f32_e32 v2, v2, v2
	v_min_f32_e32 v18, 0, v2
	v_max_f32_e32 v2, v3, v3
	v_max_f32_e32 v19, 0, v2
	v_cvt_f64_f32_e32 v[2:3], v19
	v_cvt_f64_f32_e32 v[4:5], v18
	v_cvt_f64_i32_e32 v[8:9], s6
	v_cmp_lt_f32_e64 s[2:3], 0, v19
	s_load_dwordx4 s[4:7], s[4:5], 0x20
	v_add_f64 v[6:7], v[2:3], -v[4:5]
	v_div_scale_f64 v[10:11], s[0:1], v[8:9], v[8:9], v[6:7]
	v_rcp_f64_e32 v[12:13], v[10:11]
	v_fma_f64 v[14:15], -v[10:11], v[12:13], 1.0
	v_fma_f64 v[12:13], v[12:13], v[14:15], v[12:13]
	v_div_scale_f64 v[14:15], vcc, v[6:7], v[8:9], v[6:7]
	v_fma_f64 v[16:17], -v[10:11], v[12:13], 1.0
	v_fma_f64 v[12:13], v[12:13], v[16:17], v[12:13]
	v_mul_f64 v[16:17], v[14:15], v[12:13]
	v_fma_f64 v[10:11], -v[10:11], v[16:17], v[14:15]
	v_div_fmas_f64 v[10:11], v[10:11], v[12:13], v[16:17]
	v_div_fixup_f64 v[6:7], v[10:11], v[8:9], v[6:7]
	v_cvt_f32_f64_e32 v6, v[6:7]
	v_div_scale_f32 v7, s[0:1], v6, v6, 1.0
	v_div_scale_f32 v8, vcc, 1.0, v6, 1.0
	s_movk_i32 s0, 0x204
	v_rcp_f32_e32 v9, v7
	v_fma_f32 v10, -v7, v9, 1.0
	v_fmac_f32_e32 v9, v10, v9
	v_mul_f32_e32 v10, v8, v9
	v_fma_f32 v11, -v7, v10, v8
	v_fmac_f32_e32 v10, v11, v9
	v_fma_f32 v7, -v7, v10, v8
	v_div_fmas_f32 v7, v7, v9, v10
	v_cmp_eq_f32_e32 vcc, 0, v6
	v_mov_b32_e32 v8, 0x3dcccccd
	v_div_fixup_f32 v7, v7, v6, 1.0
	v_cmp_class_f32_e64 s[0:1], v7, s0
	s_or_b64 vcc, vcc, s[0:1]
	v_cndmask_b32_e32 v20, v6, v8, vcc
	v_cvt_f64_f32_e32 v[6:7], v20
	v_div_scale_f64 v[8:9], s[0:1], v[6:7], v[6:7], v[4:5]
	v_rcp_f64_e32 v[10:11], v[8:9]
	v_fma_f64 v[12:13], -v[8:9], v[10:11], 1.0
	v_fma_f64 v[10:11], v[10:11], v[12:13], v[10:11]
	v_div_scale_f64 v[12:13], vcc, v[4:5], v[6:7], v[4:5]
	v_fma_f64 v[14:15], -v[8:9], v[10:11], 1.0
	v_fma_f64 v[10:11], v[10:11], v[14:15], v[10:11]
	v_mul_f64 v[14:15], v[12:13], v[10:11]
	v_fma_f64 v[8:9], -v[8:9], v[14:15], v[12:13]
	v_div_scale_f64 v[12:13], s[0:1], v[6:7], v[6:7], v[2:3]
	s_abs_i32 s0, s8
	s_abs_i32 s1, s9
	v_div_fmas_f64 v[8:9], v[8:9], v[10:11], v[14:15]
	v_rcp_f64_e32 v[10:11], v[12:13]
	v_div_fixup_f64 v[4:5], v[8:9], v[6:7], v[4:5]
	v_cvt_f64_u32_e32 v[8:9], s1
	v_fma_f64 v[14:15], -v[12:13], v[10:11], 1.0
	v_fma_f64 v[10:11], v[10:11], v[14:15], v[10:11]
	v_fma_f64 v[14:15], -v[12:13], v[10:11], 1.0
	v_fma_f64 v[10:11], v[10:11], v[14:15], v[10:11]
	v_div_scale_f64 v[14:15], vcc, v[2:3], v[6:7], v[2:3]
	v_mul_f64 v[16:17], v[14:15], v[10:11]
	v_fma_f64 v[12:13], -v[12:13], v[16:17], v[14:15]
	s_nop 1
	v_div_fmas_f64 v[10:11], v[12:13], v[10:11], v[16:17]
	v_cvt_f64_i32_e32 v[12:13], s8
	v_div_fixup_f64 v[6:7], v[10:11], v[6:7], v[2:3]
	v_cvt_f64_u32_e32 v[2:3], s0
	s_add_i32 s0, s9, s8
	v_cvt_f64_i32_e32 v[14:15], s0
	v_cmp_gt_f32_e64 s[0:1], 0, v18
	v_add_f64 v[10:11], |v[4:5]|, v[2:3]
	v_cvt_f64_i32_e32 v[2:3], s9
	v_add_f64 v[4:5], v[12:13], -v[4:5]
	v_add_f64 v[8:9], |v[6:7]|, v[8:9]
	s_and_b64 s[0:1], s[2:3], s[0:1]
	v_add_f64 v[6:7], v[2:3], -v[6:7]
	v_cmp_lt_f64_e32 vcc, v[10:11], v[8:9]
	v_mul_f64 v[8:9], v[14:15], 0.5
	v_cndmask_b32_e32 v4, v6, v4, vcc
	v_cndmask_b32_e32 v5, v7, v5, vcc
	s_and_b64 vcc, s[10:11], s[0:1]
	v_cndmask_b32_e32 v5, v5, v9, vcc
	v_cndmask_b32_e32 v4, v4, v8, vcc
	v_cmp_nlt_f64_e32 vcc, v[4:5], v[12:13]
	s_waitcnt lgkmcnt(0)
	v_mov_b32_e32 v7, s5
	v_add_co_u32_e64 v6, s[0:1], s4, v0
	v_addc_co_u32_e64 v7, s[0:1], v7, v1, s[0:1]
	global_store_dword v[6:7], v20, off
	v_mov_b32_e32 v6, s8
	s_and_saveexec_b64 s[0:1], vcc
	s_cbranch_execz .LBB0_7
; %bb.4:
	v_cmp_ngt_f64_e32 vcc, v[4:5], v[2:3]
	v_mov_b32_e32 v6, s9
	s_and_saveexec_b64 s[2:3], vcc
	s_cbranch_execz .LBB0_6
; %bb.5:
	v_rndne_f64_e32 v[2:3], v[4:5]
	v_cvt_i32_f64_e32 v6, v[2:3]
.LBB0_6:
	s_or_b64 exec, exec, s[2:3]
.LBB0_7:
	s_or_b64 exec, exec, s[0:1]
	v_mov_b32_e32 v2, s7
	v_add_co_u32_e32 v0, vcc, s6, v0
	v_addc_co_u32_e32 v1, vcc, v2, v1, vcc
	global_store_dword v[0:1], v6, off
.LBB0_8:
	s_endpgm
	.section	.rodata,"a",@progbits
	.p2align	6, 0x0
	.amdhsa_kernel _Z10zero_pointPKfS0_iiibPfPi
		.amdhsa_group_segment_fixed_size 0
		.amdhsa_private_segment_fixed_size 0
		.amdhsa_kernarg_size 304
		.amdhsa_user_sgpr_count 6
		.amdhsa_user_sgpr_private_segment_buffer 1
		.amdhsa_user_sgpr_dispatch_ptr 0
		.amdhsa_user_sgpr_queue_ptr 0
		.amdhsa_user_sgpr_kernarg_segment_ptr 1
		.amdhsa_user_sgpr_dispatch_id 0
		.amdhsa_user_sgpr_flat_scratch_init 0
		.amdhsa_user_sgpr_private_segment_size 0
		.amdhsa_uses_dynamic_stack 0
		.amdhsa_system_sgpr_private_segment_wavefront_offset 0
		.amdhsa_system_sgpr_workgroup_id_x 1
		.amdhsa_system_sgpr_workgroup_id_y 0
		.amdhsa_system_sgpr_workgroup_id_z 0
		.amdhsa_system_sgpr_workgroup_info 0
		.amdhsa_system_vgpr_workitem_id 0
		.amdhsa_next_free_vgpr 21
		.amdhsa_next_free_sgpr 13
		.amdhsa_reserve_vcc 1
		.amdhsa_reserve_flat_scratch 0
		.amdhsa_float_round_mode_32 0
		.amdhsa_float_round_mode_16_64 0
		.amdhsa_float_denorm_mode_32 3
		.amdhsa_float_denorm_mode_16_64 3
		.amdhsa_dx10_clamp 1
		.amdhsa_ieee_mode 1
		.amdhsa_fp16_overflow 0
		.amdhsa_exception_fp_ieee_invalid_op 0
		.amdhsa_exception_fp_denorm_src 0
		.amdhsa_exception_fp_ieee_div_zero 0
		.amdhsa_exception_fp_ieee_overflow 0
		.amdhsa_exception_fp_ieee_underflow 0
		.amdhsa_exception_fp_ieee_inexact 0
		.amdhsa_exception_int_div_zero 0
	.end_amdhsa_kernel
	.text
.Lfunc_end0:
	.size	_Z10zero_pointPKfS0_iiibPfPi, .Lfunc_end0-_Z10zero_pointPKfS0_iiibPfPi
                                        ; -- End function
	.set _Z10zero_pointPKfS0_iiibPfPi.num_vgpr, 21
	.set _Z10zero_pointPKfS0_iiibPfPi.num_agpr, 0
	.set _Z10zero_pointPKfS0_iiibPfPi.numbered_sgpr, 13
	.set _Z10zero_pointPKfS0_iiibPfPi.num_named_barrier, 0
	.set _Z10zero_pointPKfS0_iiibPfPi.private_seg_size, 0
	.set _Z10zero_pointPKfS0_iiibPfPi.uses_vcc, 1
	.set _Z10zero_pointPKfS0_iiibPfPi.uses_flat_scratch, 0
	.set _Z10zero_pointPKfS0_iiibPfPi.has_dyn_sized_stack, 0
	.set _Z10zero_pointPKfS0_iiibPfPi.has_recursion, 0
	.set _Z10zero_pointPKfS0_iiibPfPi.has_indirect_call, 0
	.section	.AMDGPU.csdata,"",@progbits
; Kernel info:
; codeLenInByte = 1012
; TotalNumSgprs: 17
; NumVgprs: 21
; ScratchSize: 0
; MemoryBound: 0
; FloatMode: 240
; IeeeMode: 1
; LDSByteSize: 0 bytes/workgroup (compile time only)
; SGPRBlocks: 2
; VGPRBlocks: 5
; NumSGPRsForWavesPerEU: 17
; NumVGPRsForWavesPerEU: 21
; Occupancy: 10
; WaveLimiterHint : 0
; COMPUTE_PGM_RSRC2:SCRATCH_EN: 0
; COMPUTE_PGM_RSRC2:USER_SGPR: 6
; COMPUTE_PGM_RSRC2:TRAP_HANDLER: 0
; COMPUTE_PGM_RSRC2:TGID_X_EN: 1
; COMPUTE_PGM_RSRC2:TGID_Y_EN: 0
; COMPUTE_PGM_RSRC2:TGID_Z_EN: 0
; COMPUTE_PGM_RSRC2:TIDIG_COMP_CNT: 0
	.section	.AMDGPU.gpr_maximums,"",@progbits
	.set amdgpu.max_num_vgpr, 0
	.set amdgpu.max_num_agpr, 0
	.set amdgpu.max_num_sgpr, 0
	.section	.AMDGPU.csdata,"",@progbits
	.type	__hip_cuid_1c0dc9738935b7e2,@object ; @__hip_cuid_1c0dc9738935b7e2
	.section	.bss,"aw",@nobits
	.globl	__hip_cuid_1c0dc9738935b7e2
__hip_cuid_1c0dc9738935b7e2:
	.byte	0                               ; 0x0
	.size	__hip_cuid_1c0dc9738935b7e2, 1

	.ident	"AMD clang version 22.0.0git (https://github.com/RadeonOpenCompute/llvm-project roc-7.2.4 26084 f58b06dce1f9c15707c5f808fd002e18c2accf7e)"
	.section	".note.GNU-stack","",@progbits
	.addrsig
	.addrsig_sym __hip_cuid_1c0dc9738935b7e2
	.amdgpu_metadata
---
amdhsa.kernels:
  - .args:
      - .address_space:  global
        .offset:         0
        .size:           8
        .value_kind:     global_buffer
      - .address_space:  global
        .offset:         8
        .size:           8
        .value_kind:     global_buffer
      - .offset:         16
        .size:           4
        .value_kind:     by_value
      - .offset:         20
        .size:           4
        .value_kind:     by_value
      - .offset:         24
        .size:           4
        .value_kind:     by_value
      - .offset:         28
        .size:           1
        .value_kind:     by_value
      - .address_space:  global
        .offset:         32
        .size:           8
        .value_kind:     global_buffer
      - .address_space:  global
        .offset:         40
        .size:           8
        .value_kind:     global_buffer
      - .offset:         48
        .size:           4
        .value_kind:     hidden_block_count_x
      - .offset:         52
        .size:           4
        .value_kind:     hidden_block_count_y
      - .offset:         56
        .size:           4
        .value_kind:     hidden_block_count_z
      - .offset:         60
        .size:           2
        .value_kind:     hidden_group_size_x
      - .offset:         62
        .size:           2
        .value_kind:     hidden_group_size_y
      - .offset:         64
        .size:           2
        .value_kind:     hidden_group_size_z
      - .offset:         66
        .size:           2
        .value_kind:     hidden_remainder_x
      - .offset:         68
        .size:           2
        .value_kind:     hidden_remainder_y
      - .offset:         70
        .size:           2
        .value_kind:     hidden_remainder_z
      - .offset:         88
        .size:           8
        .value_kind:     hidden_global_offset_x
      - .offset:         96
        .size:           8
        .value_kind:     hidden_global_offset_y
      - .offset:         104
        .size:           8
        .value_kind:     hidden_global_offset_z
      - .offset:         112
        .size:           2
        .value_kind:     hidden_grid_dims
    .group_segment_fixed_size: 0
    .kernarg_segment_align: 8
    .kernarg_segment_size: 304
    .language:       OpenCL C
    .language_version:
      - 2
      - 0
    .max_flat_workgroup_size: 1024
    .name:           _Z10zero_pointPKfS0_iiibPfPi
    .private_segment_fixed_size: 0
    .sgpr_count:     17
    .sgpr_spill_count: 0
    .symbol:         _Z10zero_pointPKfS0_iiibPfPi.kd
    .uniform_work_group_size: 1
    .uses_dynamic_stack: false
    .vgpr_count:     21
    .vgpr_spill_count: 0
    .wavefront_size: 64
amdhsa.target:   amdgcn-amd-amdhsa--gfx906
amdhsa.version:
  - 1
  - 2
...

	.end_amdgpu_metadata
